;; amdgpu-corpus repo=LLNL/RAJAPerf kind=compiled arch=gfx90a opt=O3
	.text
	.amdgcn_target "amdgcn-amd-amdhsa--gfx90a"
	.amdhsa_code_object_version 6
	.section	.text._ZN8rajaperf4apps13Diffusion3DPAILm64EEEvPdS2_S2_S2_S2_b,"axG",@progbits,_ZN8rajaperf4apps13Diffusion3DPAILm64EEEvPdS2_S2_S2_S2_b,comdat
	.protected	_ZN8rajaperf4apps13Diffusion3DPAILm64EEEvPdS2_S2_S2_S2_b ; -- Begin function _ZN8rajaperf4apps13Diffusion3DPAILm64EEEvPdS2_S2_S2_S2_b
	.globl	_ZN8rajaperf4apps13Diffusion3DPAILm64EEEvPdS2_S2_S2_S2_b
	.p2align	8
	.type	_ZN8rajaperf4apps13Diffusion3DPAILm64EEEvPdS2_S2_S2_S2_b,@function
_ZN8rajaperf4apps13Diffusion3DPAILm64EEEvPdS2_S2_S2_S2_b: ; @_ZN8rajaperf4apps13Diffusion3DPAILm64EEEvPdS2_S2_S2_S2_b
; %bb.0:
	s_load_dwordx8 s[12:19], s[4:5], 0x8
	v_bfe_u32 v1, v0, 20, 10
	v_cmp_gt_u32_e64 s[0:1], 3, v1
	v_bfe_u32 v44, v0, 10, 10
	s_and_saveexec_b64 s[2:3], s[0:1]
	s_cbranch_execz .LBB0_4
; %bb.1:
	v_cmp_gt_u32_e32 vcc, 3, v44
	s_and_b64 exec, exec, vcc
	s_cbranch_execz .LBB0_4
; %bb.2:
	v_and_b32_e32 v2, 0x3ff, v0
	v_cmp_gt_u32_e32 vcc, 3, v2
	s_and_b64 exec, exec, vcc
	s_cbranch_execz .LBB0_4
; %bb.3:
	v_mul_u32_u24_e32 v4, 24, v44
	s_waitcnt lgkmcnt(0)
	v_mov_b32_e32 v3, s17
	v_add_co_u32_e32 v5, vcc, s16, v4
	v_addc_co_u32_e32 v3, vcc, 0, v3, vcc
	v_lshlrev_b32_e32 v6, 3, v2
	v_add_co_u32_e32 v2, vcc, v5, v6
	v_addc_co_u32_e32 v3, vcc, 0, v3, vcc
	s_movk_i32 s7, 0x48
	v_mad_u64_u32 v[2:3], s[8:9], v1, s7, v[2:3]
	v_mov_b32_e32 v5, 0xd8
	v_mad_u64_u32 v[2:3], s[8:9], s6, v5, v[2:3]
	global_load_dwordx2 v[2:3], v[2:3], off
	v_mul_u32_u24_e32 v5, 0x48, v1
	v_add3_u32 v4, v5, v4, v6
	s_waitcnt vmcnt(0)
	ds_write_b64 v4, v[2:3] offset:1024
.LBB0_4:
	s_or_b64 exec, exec, s[2:3]
	v_cmp_eq_u32_e64 s[10:11], 0, v1
	s_and_saveexec_b64 s[2:3], s[10:11]
	s_cbranch_execz .LBB0_8
; %bb.5:
	v_cmp_gt_u32_e32 vcc, 3, v44
	s_and_b64 exec, exec, vcc
	s_cbranch_execz .LBB0_8
; %bb.6:
	v_and_b32_e32 v2, 0x3ff, v0
	v_cmp_gt_u32_e32 vcc, 4, v2
	s_and_b64 exec, exec, vcc
	s_cbranch_execz .LBB0_8
; %bb.7:
	v_lshlrev_b32_e32 v3, 3, v2
	v_lshl_or_b32 v3, v44, 5, v3
	s_waitcnt lgkmcnt(0)
	global_load_dwordx2 v[4:5], v3, s[12:13]
	v_lshlrev_b32_e32 v3, 3, v44
	v_mad_u32_u24 v2, v2, 24, v3
	s_waitcnt vmcnt(0)
	ds_write_b64 v2, v[4:5] offset:3072
.LBB0_8:
	s_or_b64 exec, exec, s[2:3]
	s_waitcnt lgkmcnt(0)
	; wave barrier
	s_waitcnt lgkmcnt(0)
	s_and_saveexec_b64 s[2:3], s[0:1]
	s_cbranch_execz .LBB0_12
; %bb.9:
	v_cmp_gt_u32_e32 vcc, 3, v44
	s_and_b64 exec, exec, vcc
	s_cbranch_execz .LBB0_12
; %bb.10:
	v_and_b32_e32 v2, 0x3ff, v0
	v_cmp_gt_u32_e32 vcc, 4, v2
	s_and_b64 exec, exec, vcc
	s_cbranch_execz .LBB0_12
; %bb.11:
	v_mov_b32_e32 v4, 0xc00
	v_mul_u32_u24_e32 v3, 24, v44
	s_movk_i32 s7, 0x48
	v_mad_u32_u24 v4, v2, 24, v4
	v_mul_u32_u24_e32 v14, 24, v2
	v_mad_u32_u24 v3, v1, s7, v3
	ds_read2_b64 v[4:7], v4 offset1:1
	ds_read2_b64 v[8:11], v3 offset0:128 offset1:129
	ds_read_b64 v[12:13], v3 offset:1040
	ds_read_b64 v[14:15], v14 offset:3088
	v_lshlrev_b32_e32 v2, 3, v2
	v_lshlrev_b32_e32 v3, 5, v44
	s_waitcnt lgkmcnt(2)
	v_fma_f64 v[4:5], v[8:9], v[4:5], 0
	v_fmac_f64_e32 v[4:5], v[10:11], v[6:7]
	v_mul_u32_u24_e32 v6, 0x60, v1
	s_waitcnt lgkmcnt(0)
	v_fmac_f64_e32 v[4:5], v[12:13], v[14:15]
	v_add3_u32 v2, v6, v3, v2
	ds_write2st64_b64 v2, v[4:5], v[4:5] offset1:1
.LBB0_12:
	s_or_b64 exec, exec, s[2:3]
	s_waitcnt lgkmcnt(0)
	; wave barrier
	s_waitcnt lgkmcnt(0)
	s_and_saveexec_b64 s[2:3], s[0:1]
	s_cbranch_execz .LBB0_16
; %bb.13:
	v_cmp_gt_u32_e32 vcc, 4, v44
	s_and_b64 exec, exec, vcc
	s_cbranch_execz .LBB0_16
; %bb.14:
	v_and_b32_e32 v2, 0x3ff, v0
	v_cmp_gt_u32_e32 vcc, 4, v2
	s_and_b64 exec, exec, vcc
	s_cbranch_execz .LBB0_16
; %bb.15:
	v_lshlrev_b32_e32 v20, 3, v2
	s_movk_i32 s7, 0x60
	v_mad_u32_u24 v14, v1, s7, v20
	v_mov_b32_e32 v6, 0xc00
	ds_read2_b64 v[2:5], v14 offset0:8 offset1:64
	v_mad_u32_u24 v6, v44, 24, v6
	ds_read2_b64 v[6:9], v6 offset1:1
	ds_read2_b64 v[10:13], v14 offset1:4
	ds_read2_b64 v[14:17], v14 offset0:68 offset1:72
	v_mul_u32_u24_e32 v18, 24, v44
	ds_read_b64 v[18:19], v18 offset:3088
	s_waitcnt lgkmcnt(3)
	v_fma_f64 v[4:5], v[4:5], v[6:7], 0
	s_waitcnt lgkmcnt(2)
	v_fma_f64 v[6:7], v[6:7], v[10:11], 0
	v_fmac_f64_e32 v[6:7], v[8:9], v[12:13]
	s_waitcnt lgkmcnt(1)
	v_fmac_f64_e32 v[4:5], v[14:15], v[8:9]
	s_waitcnt lgkmcnt(0)
	v_fmac_f64_e32 v[6:7], v[18:19], v[2:3]
	v_lshlrev_b32_e32 v2, 5, v44
	v_lshlrev_b32_e32 v3, 7, v1
	v_fmac_f64_e32 v[4:5], v[16:17], v[18:19]
	v_add3_u32 v2, v3, v2, v20
	ds_write2st64_b64 v2, v[4:5], v[6:7] offset0:3 offset1:4
	ds_write_b64 v2, v[6:7] offset:2560
.LBB0_16:
	s_or_b64 exec, exec, s[2:3]
	v_cmp_gt_u32_e64 s[2:3], 4, v1
	s_waitcnt lgkmcnt(0)
	; wave barrier
	s_waitcnt lgkmcnt(0)
	s_and_saveexec_b64 s[16:17], s[2:3]
	s_cbranch_execz .LBB0_26
; %bb.17:
	v_cmp_gt_u32_e32 vcc, 4, v44
	s_and_b64 exec, exec, vcc
	s_cbranch_execz .LBB0_26
; %bb.18:
	v_and_b32_e32 v2, 0x3ff, v0
	v_cmp_gt_u32_e32 vcc, 4, v2
	s_and_b64 exec, exec, vcc
	s_cbranch_execz .LBB0_26
; %bb.19:
	s_load_dword s4, s[4:5], 0x28
	v_lshlrev_b32_e32 v3, 2, v44
	v_lshlrev_b32_e32 v4, 4, v1
	s_mul_hi_u32 s9, s6, 0x180
	v_or3_b32 v45, v4, v3, v2
	s_mul_i32 s8, s6, 0x180
	v_or_b32_e32 v4, s8, v45
	v_mov_b32_e32 v5, s9
	s_waitcnt lgkmcnt(0)
	s_bitcmp1_b32 s4, 0
	v_lshlrev_b64 v[4:5], 3, v[4:5]
	s_cselect_b64 s[4:5], -1, 0
	v_mov_b32_e32 v3, s15
	v_add_co_u32_e32 v6, vcc, s14, v4
	s_xor_b64 s[22:23], s[4:5], -1
	v_addc_co_u32_e32 v7, vcc, v3, v5, vcc
	v_or_b32_e32 v3, 0x200, v4
	s_lshl_b64 s[20:21], s[8:9], 3
	v_mov_b32_e32 v8, s15
	v_add_co_u32_e32 v4, vcc, s14, v3
	s_add_u32 s8, s20, s14
	v_addc_co_u32_e32 v5, vcc, v8, v5, vcc
	v_lshlrev_b32_e32 v28, 3, v45
	global_load_dwordx2 v[22:23], v[6:7], off
	global_load_dwordx2 v[24:25], v[4:5], off
	s_addc_u32 s9, s21, s15
	global_load_dwordx2 v[26:27], v28, s[8:9] offset:1024
	v_lshlrev_b32_e32 v46, 3, v2
	v_lshl_add_u32 v29, v44, 5, v46
	v_mov_b32_e32 v6, 0xc00
	v_mad_u32_u24 v18, v1, 24, v6
	v_mul_u32_u24_e32 v19, 24, v1
	v_add_u32_e32 v6, 0x400, v29
	v_add_u32_e32 v10, 0x800, v29
	ds_read2_b64 v[2:5], v29 offset0:192 offset1:208
	ds_read2_b64 v[6:9], v6 offset0:96 offset1:128
	;; [unrolled: 1-line block ×4, first 2 shown]
	ds_read_b64 v[30:31], v19 offset:3088
	ds_read2_b64 v[18:21], v18 offset1:1
	ds_read_b64 v[32:33], v29 offset:2816
	v_mov_b32_e32 v29, s9
	v_add_co_u32_e32 v42, vcc, s8, v28
	v_addc_co_u32_e32 v43, vcc, 0, v29, vcc
	s_and_b64 vcc, exec, s[4:5]
	s_waitcnt vmcnt(1)
	v_pk_mov_b32 v[28:29], v[24:25], v[24:25] op_sel:[0,1]
	s_cbranch_vccnz .LBB0_21
; %bb.20:
	global_load_dwordx2 v[28:29], v[42:43], off offset:1536
.LBB0_21:
	v_or_b32_e32 v34, 0xc0, v45
	v_or_b32_e32 v35, 0x100, v45
	v_cndmask_b32_e64 v34, v35, v34, s[4:5]
	s_add_u32 s8, s20, s14
	v_or_b32_e32 v47, 0x140, v45
	v_lshlrev_b32_e32 v38, 3, v34
	s_addc_u32 s9, s21, s15
	v_cndmask_b32_e64 v34, v47, v35, s[4:5]
	v_lshlrev_b32_e32 v39, 3, v34
	global_load_dwordx2 v[36:37], v38, s[8:9]
	global_load_dwordx2 v[34:35], v39, s[8:9]
	v_cndmask_b32_e64 v38, 0, 1, s[22:23]
	v_cmp_ne_u32_e64 s[8:9], 1, v38
	s_andn2_b64 vcc, exec, s[22:23]
	s_waitcnt vmcnt(2)
	v_pk_mov_b32 v[38:39], v[26:27], v[26:27] op_sel:[0,1]
	s_cbranch_vccnz .LBB0_23
; %bb.22:
	global_load_dwordx2 v[38:39], v[42:43], off offset:3072
.LBB0_23:
	s_and_b64 vcc, exec, s[8:9]
	s_waitcnt vmcnt(0)
	v_pk_mov_b32 v[40:41], v[34:35], v[34:35] op_sel:[0,1]
	s_cbranch_vccnz .LBB0_25
; %bb.24:
	global_load_dwordx2 v[40:41], v[42:43], off offset:3584
.LBB0_25:
	v_or_b32_e32 v42, 0x200, v45
	v_cndmask_b32_e64 v42, v42, v47, s[4:5]
	s_add_u32 s4, s20, s14
	v_lshlrev_b32_e32 v42, 3, v42
	s_addc_u32 s5, s21, s15
	global_load_dwordx2 v[42:43], v42, s[4:5]
	s_waitcnt lgkmcnt(1)
	v_fma_f64 v[2:3], v[2:3], v[18:19], 0
	v_fma_f64 v[8:9], v[18:19], v[8:9], 0
	v_fmac_f64_e32 v[2:3], v[4:5], v[20:21]
	v_fmac_f64_e32 v[8:9], v[20:21], v[10:11]
	v_fma_f64 v[14:15], v[18:19], v[14:15], 0
	v_fmac_f64_e32 v[2:3], v[6:7], v[30:31]
	v_fmac_f64_e32 v[8:9], v[30:31], v[12:13]
	v_lshlrev_b32_e32 v6, 5, v44
	v_lshlrev_b32_e32 v7, 7, v1
	v_fmac_f64_e32 v[14:15], v[20:21], v[16:17]
	v_mul_f64 v[4:5], v[8:9], v[24:25]
	v_add3_u32 v10, v7, v6, v46
	v_mul_f64 v[6:7], v[8:9], v[36:37]
	s_waitcnt lgkmcnt(0)
	v_fmac_f64_e32 v[14:15], v[30:31], v[32:33]
	v_fmac_f64_e32 v[4:5], v[2:3], v[22:23]
	;; [unrolled: 1-line block ×5, first 2 shown]
	ds_write2st64_b64 v10, v[4:5], v[6:7] offset1:1
	s_waitcnt vmcnt(1)
	v_mul_f64 v[4:5], v[8:9], v[40:41]
	v_fmac_f64_e32 v[4:5], v[2:3], v[38:39]
	s_waitcnt vmcnt(0)
	v_fmac_f64_e32 v[4:5], v[14:15], v[42:43]
	ds_write_b64 v10, v[4:5] offset:1024
.LBB0_26:
	s_or_b64 exec, exec, s[16:17]
	s_waitcnt lgkmcnt(0)
	; wave barrier
	s_waitcnt lgkmcnt(0)
	s_and_saveexec_b64 s[4:5], s[10:11]
	s_cbranch_execz .LBB0_30
; %bb.27:
	v_cmp_gt_u32_e32 vcc, 3, v44
	s_and_b64 exec, exec, vcc
	s_cbranch_execz .LBB0_30
; %bb.28:
	v_and_b32_e32 v2, 0x3ff, v0
	v_cmp_gt_u32_e32 vcc, 4, v2
	s_and_b64 exec, exec, vcc
	s_cbranch_execz .LBB0_30
; %bb.29:
	v_lshlrev_b32_e32 v4, 3, v2
	v_lshlrev_b32_e32 v5, 5, v44
	v_or_b32_e32 v2, v5, v4
	global_load_dwordx2 v[2:3], v2, s[12:13]
	v_add_u32_e32 v4, v5, v4
	s_waitcnt vmcnt(0)
	ds_write_b64 v4, v[2:3] offset:3072
.LBB0_30:
	s_or_b64 exec, exec, s[4:5]
	s_waitcnt lgkmcnt(0)
	; wave barrier
	s_waitcnt lgkmcnt(0)
	s_and_saveexec_b64 s[4:5], s[2:3]
	s_cbranch_execz .LBB0_34
; %bb.31:
	v_cmp_gt_u32_e32 vcc, 4, v44
	s_and_b64 exec, exec, vcc
	s_cbranch_execz .LBB0_34
; %bb.32:
	v_and_b32_e32 v2, 0x3ff, v0
	v_cmp_gt_u32_e32 vcc, 3, v2
	s_and_b64 exec, exec, vcc
	s_cbranch_execz .LBB0_34
; %bb.33:
	v_lshlrev_b32_e32 v3, 5, v44
	v_lshlrev_b32_e32 v20, 5, v2
	v_lshl_add_u32 v3, v1, 7, v3
	ds_read_b128 v[4:7], v20 offset:3072
	ds_read_b128 v[8:11], v3
	ds_read_b128 v[12:15], v3 offset:16
	ds_read_b128 v[16:19], v3 offset:512
	;; [unrolled: 1-line block ×6, first 2 shown]
	s_waitcnt lgkmcnt(6)
	v_fma_f64 v[8:9], v[8:9], v[4:5], 0
	s_waitcnt lgkmcnt(4)
	v_fma_f64 v[16:17], v[4:5], v[16:17], 0
	;; [unrolled: 2-line block ×3, first 2 shown]
	v_fmac_f64_e32 v[8:9], v[10:11], v[6:7]
	v_fmac_f64_e32 v[16:17], v[6:7], v[18:19]
	;; [unrolled: 1-line block ×4, first 2 shown]
	s_waitcnt lgkmcnt(1)
	v_fmac_f64_e32 v[16:17], v[20:21], v[28:29]
	v_lshlrev_b32_e32 v2, 3, v2
	v_mul_u32_u24_e32 v3, 24, v44
	v_mul_u32_u24_e32 v6, 0x60, v1
	s_waitcnt lgkmcnt(0)
	v_fmac_f64_e32 v[4:5], v[20:21], v[32:33]
	v_fmac_f64_e32 v[8:9], v[14:15], v[22:23]
	v_fmac_f64_e32 v[16:17], v[22:23], v[30:31]
	v_add3_u32 v2, v6, v3, v2
	v_fmac_f64_e32 v[4:5], v[22:23], v[34:35]
	ds_write2st64_b64 v2, v[8:9], v[16:17] offset0:3 offset1:4
	ds_write_b64 v2, v[4:5] offset:2560
.LBB0_34:
	s_or_b64 exec, exec, s[4:5]
	s_waitcnt lgkmcnt(0)
	; wave barrier
	s_waitcnt lgkmcnt(0)
	s_and_saveexec_b64 s[4:5], s[2:3]
	s_cbranch_execz .LBB0_38
; %bb.35:
	v_cmp_gt_u32_e32 vcc, 3, v44
	s_and_b64 exec, exec, vcc
	s_cbranch_execz .LBB0_38
; %bb.36:
	v_and_b32_e32 v2, 0x3ff, v0
	v_cmp_gt_u32_e32 vcc, 3, v2
	s_and_b64 exec, exec, vcc
	s_cbranch_execz .LBB0_38
; %bb.37:
	v_lshlrev_b32_e32 v32, 3, v2
	s_movk_i32 s2, 0x60
	v_mad_u32_u24 v22, v1, s2, v32
	ds_read2_b64 v[2:5], v22 offset0:192 offset1:195
	v_lshlrev_b32_e32 v18, 5, v44
	v_add_u32_e32 v26, 0x800, v22
	ds_read_b128 v[6:9], v18 offset:3072
	ds_read2_b64 v[10:13], v26 offset1:3
	ds_read2_b64 v[14:17], v26 offset0:64 offset1:67
	ds_read_b128 v[18:21], v18 offset:3088
	ds_read2_b64 v[22:25], v22 offset0:198 offset1:201
	s_waitcnt lgkmcnt(4)
	v_fma_f64 v[30:31], v[2:3], v[6:7], 0
	v_fmac_f64_e32 v[30:31], v[4:5], v[8:9]
	ds_read2_b64 v[2:5], v26 offset0:6 offset1:9
	ds_read2_b64 v[26:29], v26 offset0:70 offset1:73
	s_waitcnt lgkmcnt(5)
	v_fma_f64 v[10:11], v[6:7], v[10:11], 0
	s_waitcnt lgkmcnt(4)
	v_fma_f64 v[6:7], v[6:7], v[14:15], 0
	v_fmac_f64_e32 v[10:11], v[8:9], v[12:13]
	v_fmac_f64_e32 v[6:7], v[8:9], v[16:17]
	s_waitcnt lgkmcnt(2)
	v_fmac_f64_e32 v[30:31], v[22:23], v[18:19]
	s_waitcnt lgkmcnt(1)
	v_fmac_f64_e32 v[10:11], v[18:19], v[2:3]
	v_mul_u32_u24_e32 v2, 24, v44
	v_mul_u32_u24_e32 v3, 0x48, v1
	s_waitcnt lgkmcnt(0)
	v_fmac_f64_e32 v[6:7], v[18:19], v[26:27]
	v_fmac_f64_e32 v[30:31], v[24:25], v[20:21]
	;; [unrolled: 1-line block ×3, first 2 shown]
	v_add3_u32 v2, v3, v2, v32
	v_fmac_f64_e32 v[6:7], v[20:21], v[28:29]
	ds_write2st64_b64 v2, v[30:31], v[10:11] offset1:1
	ds_write_b64 v2, v[6:7] offset:1024
.LBB0_38:
	s_or_b64 exec, exec, s[4:5]
	s_waitcnt lgkmcnt(0)
	; wave barrier
	s_waitcnt lgkmcnt(0)
	s_and_saveexec_b64 s[2:3], s[0:1]
	s_cbranch_execz .LBB0_42
; %bb.39:
	v_cmp_gt_u32_e32 vcc, 3, v44
	s_and_b64 exec, exec, vcc
	s_cbranch_execz .LBB0_42
; %bb.40:
	v_and_b32_e32 v0, 0x3ff, v0
	v_cmp_gt_u32_e32 vcc, 3, v0
	s_and_b64 exec, exec, vcc
	s_cbranch_execz .LBB0_42
; %bb.41:
	v_mul_u32_u24_e32 v2, 24, v44
	v_mov_b32_e32 v3, s19
	v_add_co_u32_e32 v2, vcc, s18, v2
	v_lshlrev_b32_e32 v0, 3, v0
	v_addc_co_u32_e32 v3, vcc, 0, v3, vcc
	v_add_co_u32_e32 v2, vcc, v2, v0
	v_addc_co_u32_e32 v3, vcc, 0, v3, vcc
	s_movk_i32 s0, 0x48
	v_mad_u64_u32 v[2:3], s[0:1], v1, s0, v[2:3]
	v_mov_b32_e32 v4, 0xd8
	v_mad_u64_u32 v[26:27], s[0:1], s6, v4, v[2:3]
	global_load_dwordx2 v[28:29], v[26:27], off
	v_mad_u32_u24 v22, v44, 24, v0
	ds_read2_b64 v[2:5], v22 offset1:9
	v_lshlrev_b32_e32 v0, 5, v1
	ds_read_b128 v[6:9], v0 offset:3072
	ds_read2_b64 v[10:13], v22 offset0:64 offset1:73
	ds_read2_b64 v[14:17], v22 offset0:128 offset1:137
	ds_read_b128 v[18:21], v0 offset:3088
	s_waitcnt lgkmcnt(3)
	v_fma_f64 v[30:31], v[2:3], v[6:7], 0
	s_waitcnt lgkmcnt(2)
	v_fma_f64 v[10:11], v[6:7], v[10:11], 0
	;; [unrolled: 2-line block ×3, first 2 shown]
	v_fmac_f64_e32 v[30:31], v[4:5], v[8:9]
	ds_read2_b64 v[0:3], v22 offset0:18 offset1:27
	ds_read2_b64 v[4:7], v22 offset0:82 offset1:91
	;; [unrolled: 1-line block ×3, first 2 shown]
	v_fmac_f64_e32 v[10:11], v[8:9], v[12:13]
	v_fmac_f64_e32 v[14:15], v[8:9], v[16:17]
	s_waitcnt lgkmcnt(2)
	v_fmac_f64_e32 v[30:31], v[0:1], v[18:19]
	s_waitcnt lgkmcnt(1)
	;; [unrolled: 2-line block ×3, first 2 shown]
	v_fmac_f64_e32 v[14:15], v[18:19], v[22:23]
	v_fmac_f64_e32 v[30:31], v[2:3], v[20:21]
	;; [unrolled: 1-line block ×4, first 2 shown]
	v_add_f64 v[0:1], v[30:31], v[10:11]
	v_add_f64 v[0:1], v[0:1], v[14:15]
	s_waitcnt vmcnt(0)
	v_add_f64 v[0:1], v[0:1], v[28:29]
	global_store_dwordx2 v[26:27], v[0:1], off
.LBB0_42:
	s_endpgm
	.section	.rodata,"a",@progbits
	.p2align	6, 0x0
	.amdhsa_kernel _ZN8rajaperf4apps13Diffusion3DPAILm64EEEvPdS2_S2_S2_S2_b
		.amdhsa_group_segment_fixed_size 3168
		.amdhsa_private_segment_fixed_size 0
		.amdhsa_kernarg_size 44
		.amdhsa_user_sgpr_count 6
		.amdhsa_user_sgpr_private_segment_buffer 1
		.amdhsa_user_sgpr_dispatch_ptr 0
		.amdhsa_user_sgpr_queue_ptr 0
		.amdhsa_user_sgpr_kernarg_segment_ptr 1
		.amdhsa_user_sgpr_dispatch_id 0
		.amdhsa_user_sgpr_flat_scratch_init 0
		.amdhsa_user_sgpr_kernarg_preload_length 0
		.amdhsa_user_sgpr_kernarg_preload_offset 0
		.amdhsa_user_sgpr_private_segment_size 0
		.amdhsa_uses_dynamic_stack 0
		.amdhsa_system_sgpr_private_segment_wavefront_offset 0
		.amdhsa_system_sgpr_workgroup_id_x 1
		.amdhsa_system_sgpr_workgroup_id_y 0
		.amdhsa_system_sgpr_workgroup_id_z 0
		.amdhsa_system_sgpr_workgroup_info 0
		.amdhsa_system_vgpr_workitem_id 2
		.amdhsa_next_free_vgpr 48
		.amdhsa_next_free_sgpr 24
		.amdhsa_accum_offset 48
		.amdhsa_reserve_vcc 1
		.amdhsa_reserve_flat_scratch 0
		.amdhsa_float_round_mode_32 0
		.amdhsa_float_round_mode_16_64 0
		.amdhsa_float_denorm_mode_32 3
		.amdhsa_float_denorm_mode_16_64 3
		.amdhsa_dx10_clamp 1
		.amdhsa_ieee_mode 1
		.amdhsa_fp16_overflow 0
		.amdhsa_tg_split 0
		.amdhsa_exception_fp_ieee_invalid_op 0
		.amdhsa_exception_fp_denorm_src 0
		.amdhsa_exception_fp_ieee_div_zero 0
		.amdhsa_exception_fp_ieee_overflow 0
		.amdhsa_exception_fp_ieee_underflow 0
		.amdhsa_exception_fp_ieee_inexact 0
		.amdhsa_exception_int_div_zero 0
	.end_amdhsa_kernel
	.section	.text._ZN8rajaperf4apps13Diffusion3DPAILm64EEEvPdS2_S2_S2_S2_b,"axG",@progbits,_ZN8rajaperf4apps13Diffusion3DPAILm64EEEvPdS2_S2_S2_S2_b,comdat
.Lfunc_end0:
	.size	_ZN8rajaperf4apps13Diffusion3DPAILm64EEEvPdS2_S2_S2_S2_b, .Lfunc_end0-_ZN8rajaperf4apps13Diffusion3DPAILm64EEEvPdS2_S2_S2_S2_b
                                        ; -- End function
	.section	.AMDGPU.csdata,"",@progbits
; Kernel info:
; codeLenInByte = 2244
; NumSgprs: 28
; NumVgprs: 48
; NumAgprs: 0
; TotalNumVgprs: 48
; ScratchSize: 0
; MemoryBound: 0
; FloatMode: 240
; IeeeMode: 1
; LDSByteSize: 3168 bytes/workgroup (compile time only)
; SGPRBlocks: 3
; VGPRBlocks: 5
; NumSGPRsForWavesPerEU: 28
; NumVGPRsForWavesPerEU: 48
; AccumOffset: 48
; Occupancy: 5
; WaveLimiterHint : 0
; COMPUTE_PGM_RSRC2:SCRATCH_EN: 0
; COMPUTE_PGM_RSRC2:USER_SGPR: 6
; COMPUTE_PGM_RSRC2:TRAP_HANDLER: 0
; COMPUTE_PGM_RSRC2:TGID_X_EN: 1
; COMPUTE_PGM_RSRC2:TGID_Y_EN: 0
; COMPUTE_PGM_RSRC2:TGID_Z_EN: 0
; COMPUTE_PGM_RSRC2:TIDIG_COMP_CNT: 2
; COMPUTE_PGM_RSRC3_GFX90A:ACCUM_OFFSET: 11
; COMPUTE_PGM_RSRC3_GFX90A:TG_SPLIT: 0
	.section	.text._ZN4RAJA34launch_new_reduce_global_fcn_fixedIZN8rajaperf4apps13DIFFUSION3DPA17runHipVariantImplILm64EEEvNS1_9VariantIDEEUlNS_14LaunchContextTINS_3hip33LaunchContextIndicesAndDimsPolicyINS7_14IndicesAndDimsILb0ELb0ELb0ELb0EEEEEEEE_Li64ENS_4expt15ForallParamPackIJEEEEEvT_T1_,"axG",@progbits,_ZN4RAJA34launch_new_reduce_global_fcn_fixedIZN8rajaperf4apps13DIFFUSION3DPA17runHipVariantImplILm64EEEvNS1_9VariantIDEEUlNS_14LaunchContextTINS_3hip33LaunchContextIndicesAndDimsPolicyINS7_14IndicesAndDimsILb0ELb0ELb0ELb0EEEEEEEE_Li64ENS_4expt15ForallParamPackIJEEEEEvT_T1_,comdat
	.protected	_ZN4RAJA34launch_new_reduce_global_fcn_fixedIZN8rajaperf4apps13DIFFUSION3DPA17runHipVariantImplILm64EEEvNS1_9VariantIDEEUlNS_14LaunchContextTINS_3hip33LaunchContextIndicesAndDimsPolicyINS7_14IndicesAndDimsILb0ELb0ELb0ELb0EEEEEEEE_Li64ENS_4expt15ForallParamPackIJEEEEEvT_T1_ ; -- Begin function _ZN4RAJA34launch_new_reduce_global_fcn_fixedIZN8rajaperf4apps13DIFFUSION3DPA17runHipVariantImplILm64EEEvNS1_9VariantIDEEUlNS_14LaunchContextTINS_3hip33LaunchContextIndicesAndDimsPolicyINS7_14IndicesAndDimsILb0ELb0ELb0ELb0EEEEEEEE_Li64ENS_4expt15ForallParamPackIJEEEEEvT_T1_
	.globl	_ZN4RAJA34launch_new_reduce_global_fcn_fixedIZN8rajaperf4apps13DIFFUSION3DPA17runHipVariantImplILm64EEEvNS1_9VariantIDEEUlNS_14LaunchContextTINS_3hip33LaunchContextIndicesAndDimsPolicyINS7_14IndicesAndDimsILb0ELb0ELb0ELb0EEEEEEEE_Li64ENS_4expt15ForallParamPackIJEEEEEvT_T1_
	.p2align	8
	.type	_ZN4RAJA34launch_new_reduce_global_fcn_fixedIZN8rajaperf4apps13DIFFUSION3DPA17runHipVariantImplILm64EEEvNS1_9VariantIDEEUlNS_14LaunchContextTINS_3hip33LaunchContextIndicesAndDimsPolicyINS7_14IndicesAndDimsILb0ELb0ELb0ELb0EEEEEEEE_Li64ENS_4expt15ForallParamPackIJEEEEEvT_T1_,@function
_ZN4RAJA34launch_new_reduce_global_fcn_fixedIZN8rajaperf4apps13DIFFUSION3DPA17runHipVariantImplILm64EEEvNS1_9VariantIDEEUlNS_14LaunchContextTINS_3hip33LaunchContextIndicesAndDimsPolicyINS7_14IndicesAndDimsILb0ELb0ELb0ELb0EEEEEEEE_Li64ENS_4expt15ForallParamPackIJEEEEEvT_T1_: ; @_ZN4RAJA34launch_new_reduce_global_fcn_fixedIZN8rajaperf4apps13DIFFUSION3DPA17runHipVariantImplILm64EEEvNS1_9VariantIDEEUlNS_14LaunchContextTINS_3hip33LaunchContextIndicesAndDimsPolicyINS7_14IndicesAndDimsILb0ELb0ELb0ELb0EEEEEEEE_Li64ENS_4expt15ForallParamPackIJEEEEEvT_T1_
; %bb.0:
	s_load_dwordx4 s[0:3], s[4:5], 0x0
	s_mov_b32 s7, 0
	v_pk_mov_b32 v[2:3], s[6:7], s[6:7] op_sel:[0,1]
	s_waitcnt lgkmcnt(0)
	v_cmp_le_i64_e32 vcc, s[0:1], v[2:3]
	s_cbranch_vccnz .LBB1_37
; %bb.1:
	s_load_dwordx4 s[8:11], s[4:5], 0x18
	s_load_dwordx2 s[12:13], s[4:5], 0x28
	v_bfe_u32 v1, v0, 20, 10
	v_cmp_gt_u32_e32 vcc, 3, v1
	v_bfe_u32 v2, v0, 10, 10
	s_and_saveexec_b64 s[4:5], vcc
	s_cbranch_execz .LBB1_5
; %bb.2:
	v_cmp_gt_u32_e64 s[0:1], 3, v2
	s_and_b64 exec, exec, s[0:1]
	s_cbranch_execz .LBB1_5
; %bb.3:
	v_and_b32_e32 v3, 0x3ff, v0
	v_cmp_gt_u32_e64 s[0:1], 3, v3
	s_and_b64 exec, exec, s[0:1]
	s_cbranch_execz .LBB1_5
; %bb.4:
	v_mul_u32_u24_e32 v6, 24, v2
	v_mov_b32_e32 v4, s3
	v_add_co_u32_e64 v5, s[0:1], s2, v6
	v_addc_co_u32_e64 v7, s[0:1], 0, v4, s[0:1]
	v_lshlrev_b32_e32 v3, 3, v3
	v_add_co_u32_e64 v4, s[0:1], v5, v3
	v_addc_co_u32_e64 v5, s[0:1], 0, v7, s[0:1]
	s_movk_i32 s0, 0x48
	v_mad_u64_u32 v[4:5], s[0:1], v1, s0, v[4:5]
	v_mov_b32_e32 v7, 0xd8
	v_mad_u64_u32 v[4:5], s[0:1], s6, v7, v[4:5]
	global_load_dwordx2 v[4:5], v[4:5], off
	v_mul_u32_u24_e32 v7, 0x48, v1
	v_add3_u32 v3, v7, v6, v3
	s_waitcnt vmcnt(0)
	ds_write_b64 v3, v[4:5] offset:1024
.LBB1_5:
	s_or_b64 exec, exec, s[4:5]
	v_cmp_eq_u32_e64 s[2:3], 0, v1
	s_waitcnt lgkmcnt(0)
	; wave barrier
	s_waitcnt lgkmcnt(0)
	s_and_saveexec_b64 s[4:5], s[2:3]
	s_cbranch_execz .LBB1_9
; %bb.6:
	v_cmp_gt_u32_e64 s[0:1], 3, v2
	s_and_b64 exec, exec, s[0:1]
	s_cbranch_execz .LBB1_9
; %bb.7:
	v_and_b32_e32 v3, 0x3ff, v0
	v_cmp_gt_u32_e64 s[0:1], 4, v3
	s_and_b64 exec, exec, s[0:1]
	s_cbranch_execz .LBB1_9
; %bb.8:
	v_lshlrev_b32_e32 v4, 5, v2
	v_mov_b32_e32 v5, s9
	v_add_co_u32_e64 v4, s[0:1], s8, v4
	v_addc_co_u32_e64 v5, s[0:1], 0, v5, s[0:1]
	v_lshlrev_b32_e32 v6, 3, v3
	v_add_co_u32_e64 v4, s[0:1], v4, v6
	v_addc_co_u32_e64 v5, s[0:1], 0, v5, s[0:1]
	global_load_dwordx2 v[4:5], v[4:5], off
	v_lshlrev_b32_e32 v6, 3, v2
	v_mad_u32_u24 v3, v3, 24, v6
	s_waitcnt vmcnt(0)
	ds_write_b64 v3, v[4:5] offset:3072
.LBB1_9:
	s_or_b64 exec, exec, s[4:5]
	s_waitcnt lgkmcnt(0)
	; wave barrier
	s_waitcnt lgkmcnt(0)
	s_and_saveexec_b64 s[4:5], vcc
	s_cbranch_execz .LBB1_13
; %bb.10:
	v_cmp_gt_u32_e64 s[0:1], 3, v2
	s_and_b64 exec, exec, s[0:1]
	s_cbranch_execz .LBB1_13
; %bb.11:
	v_and_b32_e32 v3, 0x3ff, v0
	v_cmp_gt_u32_e64 s[0:1], 4, v3
	s_and_b64 exec, exec, s[0:1]
	s_cbranch_execz .LBB1_13
; %bb.12:
	v_mul_u32_u24_e32 v4, 24, v2
	s_movk_i32 s0, 0x48
	v_mad_u32_u24 v12, v1, s0, v4
	v_mov_b32_e32 v4, 0xc00
	v_mad_u32_u24 v4, v3, 24, v4
	v_mul_u32_u24_e32 v14, 24, v3
	ds_read2_b64 v[4:7], v4 offset1:1
	ds_read2_b64 v[8:11], v12 offset0:128 offset1:129
	ds_read_b64 v[12:13], v12 offset:1040
	ds_read_b64 v[14:15], v14 offset:3088
	v_lshlrev_b32_e32 v3, 3, v3
	s_waitcnt lgkmcnt(2)
	v_fma_f64 v[4:5], v[8:9], v[4:5], 0
	v_fmac_f64_e32 v[4:5], v[10:11], v[6:7]
	v_lshlrev_b32_e32 v6, 5, v2
	v_mul_u32_u24_e32 v7, 0x60, v1
	s_waitcnt lgkmcnt(0)
	v_fmac_f64_e32 v[4:5], v[12:13], v[14:15]
	v_add3_u32 v3, v7, v6, v3
	ds_write2st64_b64 v3, v[4:5], v[4:5] offset1:1
.LBB1_13:
	s_or_b64 exec, exec, s[4:5]
	s_waitcnt lgkmcnt(0)
	; wave barrier
	s_waitcnt lgkmcnt(0)
	s_and_saveexec_b64 s[4:5], vcc
	s_cbranch_execz .LBB1_17
; %bb.14:
	v_cmp_gt_u32_e64 s[0:1], 4, v2
	s_and_b64 exec, exec, s[0:1]
	s_cbranch_execz .LBB1_17
; %bb.15:
	v_and_b32_e32 v3, 0x3ff, v0
	v_cmp_gt_u32_e64 s[0:1], 4, v3
	s_and_b64 exec, exec, s[0:1]
	s_cbranch_execz .LBB1_17
; %bb.16:
	v_lshlrev_b32_e32 v3, 3, v3
	s_movk_i32 s0, 0x60
	v_mad_u32_u24 v16, v1, s0, v3
	v_mov_b32_e32 v8, 0xc00
	ds_read2_b64 v[4:7], v16 offset0:8 offset1:64
	v_mad_u32_u24 v8, v2, 24, v8
	ds_read2_b64 v[8:11], v8 offset1:1
	ds_read2_b64 v[12:15], v16 offset1:4
	ds_read2_b64 v[16:19], v16 offset0:68 offset1:72
	v_mul_u32_u24_e32 v20, 24, v2
	ds_read_b64 v[20:21], v20 offset:3088
	s_waitcnt lgkmcnt(3)
	v_fma_f64 v[6:7], v[6:7], v[8:9], 0
	s_waitcnt lgkmcnt(2)
	v_fma_f64 v[8:9], v[8:9], v[12:13], 0
	v_fmac_f64_e32 v[8:9], v[10:11], v[14:15]
	s_waitcnt lgkmcnt(1)
	v_fmac_f64_e32 v[6:7], v[16:17], v[10:11]
	s_waitcnt lgkmcnt(0)
	v_fmac_f64_e32 v[8:9], v[20:21], v[4:5]
	v_lshlrev_b32_e32 v4, 5, v2
	v_lshlrev_b32_e32 v5, 7, v1
	v_fmac_f64_e32 v[6:7], v[18:19], v[20:21]
	v_add3_u32 v3, v5, v4, v3
	ds_write2st64_b64 v3, v[6:7], v[8:9] offset0:3 offset1:4
	ds_write_b64 v3, v[8:9] offset:2560
.LBB1_17:
	s_or_b64 exec, exec, s[4:5]
	v_cmp_gt_u32_e64 s[0:1], 4, v1
	s_waitcnt lgkmcnt(0)
	; wave barrier
	s_waitcnt lgkmcnt(0)
	s_and_saveexec_b64 s[14:15], s[0:1]
	s_cbranch_execz .LBB1_21
; %bb.18:
	v_cmp_gt_u32_e64 s[4:5], 4, v2
	s_and_b64 exec, exec, s[4:5]
	s_cbranch_execz .LBB1_21
; %bb.19:
	v_and_b32_e32 v3, 0x3ff, v0
	v_cmp_gt_u32_e64 s[4:5], 4, v3
	s_and_b64 exec, exec, s[4:5]
	s_cbranch_execz .LBB1_21
; %bb.20:
	v_lshlrev_b32_e32 v6, 5, v2
	v_mov_b32_e32 v4, s11
	v_add_co_u32_e64 v5, s[4:5], s10, v6
	v_lshlrev_b32_e32 v3, 3, v3
	v_addc_co_u32_e64 v4, s[4:5], 0, v4, s[4:5]
	v_add_co_u32_e64 v5, s[4:5], v5, v3
	v_addc_co_u32_e64 v8, s[4:5], 0, v4, s[4:5]
	v_lshlrev_b32_e32 v9, 7, v1
	v_add_co_u32_e64 v4, s[4:5], v5, v9
	v_mov_b32_e32 v7, 0xc00
	v_addc_co_u32_e64 v5, s[4:5], 0, v8, s[4:5]
	v_mad_u64_u32 v[4:5], s[4:5], s6, v7, v[4:5]
	global_load_dwordx2 v[24:25], v[4:5], off offset:512
	global_load_dwordx2 v[26:27], v[4:5], off offset:1536
	;; [unrolled: 1-line block ×3, first 2 shown]
	global_load_dwordx2 v[30:31], v[4:5], off
	global_load_dwordx2 v[32:33], v[4:5], off offset:1024
	global_load_dwordx2 v[34:35], v[4:5], off offset:2560
	v_add_u32_e32 v20, v6, v3
	v_mul_u32_u24_e32 v4, 24, v1
	v_mad_u32_u24 v8, v1, 24, v7
	v_add_u32_e32 v12, 0x400, v20
	v_add_u32_e32 v21, 0x800, v20
	ds_read_b64 v[36:37], v4 offset:3088
	v_add3_u32 v3, v9, v6, v3
	ds_read2_b64 v[4:7], v20 offset0:192 offset1:208
	ds_read2_b64 v[8:11], v8 offset1:1
	ds_read2_b64 v[12:15], v12 offset0:96 offset1:128
	ds_read2_b64 v[16:19], v21 offset0:64 offset1:80
	ds_read_b64 v[38:39], v20 offset:2816
	ds_read2_b64 v[20:23], v21 offset0:16 offset1:32
	s_waitcnt lgkmcnt(3)
	v_fma_f64 v[14:15], v[8:9], v[14:15], 0
	v_fma_f64 v[4:5], v[4:5], v[8:9], 0
	s_waitcnt lgkmcnt(0)
	v_fmac_f64_e32 v[14:15], v[10:11], v[20:21]
	v_fma_f64 v[8:9], v[8:9], v[16:17], 0
	v_fmac_f64_e32 v[4:5], v[6:7], v[10:11]
	v_fmac_f64_e32 v[14:15], v[36:37], v[22:23]
	;; [unrolled: 1-line block ×5, first 2 shown]
	s_waitcnt vmcnt(5)
	v_mul_f64 v[6:7], v[14:15], v[24:25]
	s_waitcnt vmcnt(4)
	v_mul_f64 v[10:11], v[14:15], v[26:27]
	;; [unrolled: 2-line block ×3, first 2 shown]
	s_waitcnt vmcnt(2)
	v_fmac_f64_e32 v[6:7], v[4:5], v[30:31]
	v_fmac_f64_e32 v[10:11], v[4:5], v[24:25]
	s_waitcnt vmcnt(1)
	v_fmac_f64_e32 v[12:13], v[4:5], v[32:33]
	v_fmac_f64_e32 v[6:7], v[8:9], v[32:33]
	;; [unrolled: 1-line block ×3, first 2 shown]
	s_waitcnt vmcnt(0)
	v_fmac_f64_e32 v[12:13], v[8:9], v[34:35]
	ds_write2st64_b64 v3, v[6:7], v[10:11] offset1:1
	ds_write_b64 v3, v[12:13] offset:1024
.LBB1_21:
	s_or_b64 exec, exec, s[14:15]
	s_waitcnt lgkmcnt(0)
	; wave barrier
	s_waitcnt lgkmcnt(0)
	s_and_saveexec_b64 s[4:5], s[2:3]
	s_cbranch_execz .LBB1_25
; %bb.22:
	v_cmp_gt_u32_e64 s[2:3], 3, v2
	s_and_b64 exec, exec, s[2:3]
	s_cbranch_execz .LBB1_25
; %bb.23:
	v_and_b32_e32 v3, 0x3ff, v0
	v_cmp_gt_u32_e64 s[2:3], 4, v3
	s_and_b64 exec, exec, s[2:3]
	s_cbranch_execz .LBB1_25
; %bb.24:
	v_lshlrev_b32_e32 v6, 5, v2
	v_mov_b32_e32 v4, s9
	v_add_co_u32_e64 v5, s[2:3], s8, v6
	v_addc_co_u32_e64 v7, s[2:3], 0, v4, s[2:3]
	v_lshlrev_b32_e32 v3, 3, v3
	v_add_co_u32_e64 v4, s[2:3], v5, v3
	v_addc_co_u32_e64 v5, s[2:3], 0, v7, s[2:3]
	global_load_dwordx2 v[4:5], v[4:5], off
	v_add_u32_e32 v3, v6, v3
	s_waitcnt vmcnt(0)
	ds_write_b64 v3, v[4:5] offset:3072
.LBB1_25:
	s_or_b64 exec, exec, s[4:5]
	s_waitcnt lgkmcnt(0)
	; wave barrier
	s_waitcnt lgkmcnt(0)
	s_and_saveexec_b64 s[4:5], s[0:1]
	s_cbranch_execz .LBB1_29
; %bb.26:
	v_cmp_gt_u32_e64 s[2:3], 4, v2
	s_and_b64 exec, exec, s[2:3]
	s_cbranch_execz .LBB1_29
; %bb.27:
	v_and_b32_e32 v3, 0x3ff, v0
	v_cmp_gt_u32_e64 s[2:3], 3, v3
	s_and_b64 exec, exec, s[2:3]
	s_cbranch_execz .LBB1_29
; %bb.28:
	v_lshlrev_b32_e32 v4, 5, v2
	v_lshlrev_b32_e32 v20, 5, v3
	v_lshl_add_u32 v32, v1, 7, v4
	ds_read_b128 v[4:7], v20 offset:3072
	ds_read_b128 v[8:11], v32
	ds_read_b128 v[12:15], v32 offset:16
	ds_read_b128 v[16:19], v32 offset:512
	;; [unrolled: 1-line block ×6, first 2 shown]
	s_waitcnt lgkmcnt(6)
	v_fma_f64 v[8:9], v[8:9], v[4:5], 0
	s_waitcnt lgkmcnt(4)
	v_fma_f64 v[16:17], v[4:5], v[16:17], 0
	;; [unrolled: 2-line block ×3, first 2 shown]
	v_fmac_f64_e32 v[8:9], v[10:11], v[6:7]
	v_fmac_f64_e32 v[16:17], v[6:7], v[18:19]
	;; [unrolled: 1-line block ×4, first 2 shown]
	s_waitcnt lgkmcnt(1)
	v_fmac_f64_e32 v[16:17], v[20:21], v[28:29]
	v_lshlrev_b32_e32 v3, 3, v3
	v_mul_u32_u24_e32 v6, 24, v2
	v_mul_u32_u24_e32 v7, 0x60, v1
	s_waitcnt lgkmcnt(0)
	v_fmac_f64_e32 v[4:5], v[20:21], v[32:33]
	v_fmac_f64_e32 v[8:9], v[14:15], v[22:23]
	;; [unrolled: 1-line block ×3, first 2 shown]
	v_add3_u32 v3, v7, v6, v3
	v_fmac_f64_e32 v[4:5], v[22:23], v[34:35]
	ds_write2st64_b64 v3, v[8:9], v[16:17] offset0:3 offset1:4
	ds_write_b64 v3, v[4:5] offset:2560
.LBB1_29:
	s_or_b64 exec, exec, s[4:5]
	s_waitcnt lgkmcnt(0)
	; wave barrier
	s_waitcnt lgkmcnt(0)
	s_and_saveexec_b64 s[2:3], s[0:1]
	s_cbranch_execz .LBB1_33
; %bb.30:
	v_cmp_gt_u32_e64 s[0:1], 3, v2
	s_and_b64 exec, exec, s[0:1]
	s_cbranch_execz .LBB1_33
; %bb.31:
	v_and_b32_e32 v3, 0x3ff, v0
	v_cmp_gt_u32_e64 s[0:1], 3, v3
	s_and_b64 exec, exec, s[0:1]
	s_cbranch_execz .LBB1_33
; %bb.32:
	v_lshlrev_b32_e32 v3, 3, v3
	s_movk_i32 s0, 0x60
	v_mad_u32_u24 v24, v1, s0, v3
	ds_read2_b64 v[4:7], v24 offset0:192 offset1:195
	v_lshlrev_b32_e32 v20, 5, v2
	v_add_u32_e32 v28, 0x800, v24
	ds_read_b128 v[8:11], v20 offset:3072
	ds_read2_b64 v[12:15], v28 offset1:3
	ds_read2_b64 v[16:19], v28 offset0:64 offset1:67
	ds_read_b128 v[20:23], v20 offset:3088
	ds_read2_b64 v[24:27], v24 offset0:198 offset1:201
	s_waitcnt lgkmcnt(4)
	v_fma_f64 v[32:33], v[4:5], v[8:9], 0
	v_fmac_f64_e32 v[32:33], v[6:7], v[10:11]
	ds_read2_b64 v[4:7], v28 offset0:6 offset1:9
	ds_read2_b64 v[28:31], v28 offset0:70 offset1:73
	s_waitcnt lgkmcnt(5)
	v_fma_f64 v[12:13], v[8:9], v[12:13], 0
	s_waitcnt lgkmcnt(4)
	v_fma_f64 v[8:9], v[8:9], v[16:17], 0
	v_fmac_f64_e32 v[12:13], v[10:11], v[14:15]
	v_fmac_f64_e32 v[8:9], v[10:11], v[18:19]
	s_waitcnt lgkmcnt(2)
	v_fmac_f64_e32 v[32:33], v[24:25], v[20:21]
	s_waitcnt lgkmcnt(1)
	v_fmac_f64_e32 v[12:13], v[20:21], v[4:5]
	v_mul_u32_u24_e32 v4, 24, v2
	v_mul_u32_u24_e32 v5, 0x48, v1
	s_waitcnt lgkmcnt(0)
	v_fmac_f64_e32 v[8:9], v[20:21], v[28:29]
	v_fmac_f64_e32 v[32:33], v[26:27], v[22:23]
	;; [unrolled: 1-line block ×3, first 2 shown]
	v_add3_u32 v3, v5, v4, v3
	v_fmac_f64_e32 v[8:9], v[22:23], v[30:31]
	ds_write2st64_b64 v3, v[32:33], v[12:13] offset1:1
	ds_write_b64 v3, v[8:9] offset:1024
.LBB1_33:
	s_or_b64 exec, exec, s[2:3]
	s_waitcnt lgkmcnt(0)
	; wave barrier
	s_waitcnt lgkmcnt(0)
	s_and_saveexec_b64 s[0:1], vcc
	s_cbranch_execz .LBB1_37
; %bb.34:
	v_cmp_gt_u32_e32 vcc, 3, v2
	s_and_b64 exec, exec, vcc
	s_cbranch_execz .LBB1_37
; %bb.35:
	v_and_b32_e32 v0, 0x3ff, v0
	v_cmp_gt_u32_e32 vcc, 3, v0
	s_and_b64 exec, exec, vcc
	s_cbranch_execz .LBB1_37
; %bb.36:
	v_mul_u32_u24_e32 v3, 24, v2
	v_mov_b32_e32 v4, s13
	v_add_co_u32_e32 v3, vcc, s12, v3
	v_lshlrev_b32_e32 v0, 3, v0
	v_addc_co_u32_e32 v5, vcc, 0, v4, vcc
	v_add_co_u32_e32 v4, vcc, v3, v0
	v_addc_co_u32_e32 v5, vcc, 0, v5, vcc
	s_movk_i32 s0, 0x48
	v_mad_u64_u32 v[4:5], s[0:1], v1, s0, v[4:5]
	v_mov_b32_e32 v3, 0xd8
	v_mad_u64_u32 v[26:27], s[0:1], s6, v3, v[4:5]
	global_load_dwordx2 v[28:29], v[26:27], off
	v_mad_u32_u24 v22, v2, 24, v0
	ds_read2_b64 v[2:5], v22 offset1:9
	v_lshlrev_b32_e32 v0, 5, v1
	ds_read_b128 v[6:9], v0 offset:3072
	ds_read2_b64 v[10:13], v22 offset0:64 offset1:73
	ds_read2_b64 v[14:17], v22 offset0:128 offset1:137
	ds_read_b128 v[18:21], v0 offset:3088
	s_waitcnt lgkmcnt(3)
	v_fma_f64 v[30:31], v[2:3], v[6:7], 0
	s_waitcnt lgkmcnt(2)
	v_fma_f64 v[10:11], v[6:7], v[10:11], 0
	;; [unrolled: 2-line block ×3, first 2 shown]
	v_fmac_f64_e32 v[30:31], v[4:5], v[8:9]
	ds_read2_b64 v[0:3], v22 offset0:18 offset1:27
	ds_read2_b64 v[4:7], v22 offset0:82 offset1:91
	;; [unrolled: 1-line block ×3, first 2 shown]
	v_fmac_f64_e32 v[10:11], v[8:9], v[12:13]
	v_fmac_f64_e32 v[14:15], v[8:9], v[16:17]
	s_waitcnt lgkmcnt(2)
	v_fmac_f64_e32 v[30:31], v[0:1], v[18:19]
	s_waitcnt lgkmcnt(1)
	;; [unrolled: 2-line block ×3, first 2 shown]
	v_fmac_f64_e32 v[14:15], v[18:19], v[22:23]
	v_fmac_f64_e32 v[30:31], v[2:3], v[20:21]
	;; [unrolled: 1-line block ×4, first 2 shown]
	v_add_f64 v[0:1], v[30:31], v[10:11]
	v_add_f64 v[0:1], v[0:1], v[14:15]
	s_waitcnt vmcnt(0)
	v_add_f64 v[0:1], v[28:29], v[0:1]
	global_store_dwordx2 v[26:27], v[0:1], off
.LBB1_37:
	s_endpgm
	.section	.rodata,"a",@progbits
	.p2align	6, 0x0
	.amdhsa_kernel _ZN4RAJA34launch_new_reduce_global_fcn_fixedIZN8rajaperf4apps13DIFFUSION3DPA17runHipVariantImplILm64EEEvNS1_9VariantIDEEUlNS_14LaunchContextTINS_3hip33LaunchContextIndicesAndDimsPolicyINS7_14IndicesAndDimsILb0ELb0ELb0ELb0EEEEEEEE_Li64ENS_4expt15ForallParamPackIJEEEEEvT_T1_
		.amdhsa_group_segment_fixed_size 3168
		.amdhsa_private_segment_fixed_size 0
		.amdhsa_kernarg_size 52
		.amdhsa_user_sgpr_count 6
		.amdhsa_user_sgpr_private_segment_buffer 1
		.amdhsa_user_sgpr_dispatch_ptr 0
		.amdhsa_user_sgpr_queue_ptr 0
		.amdhsa_user_sgpr_kernarg_segment_ptr 1
		.amdhsa_user_sgpr_dispatch_id 0
		.amdhsa_user_sgpr_flat_scratch_init 0
		.amdhsa_user_sgpr_kernarg_preload_length 0
		.amdhsa_user_sgpr_kernarg_preload_offset 0
		.amdhsa_user_sgpr_private_segment_size 0
		.amdhsa_uses_dynamic_stack 0
		.amdhsa_system_sgpr_private_segment_wavefront_offset 0
		.amdhsa_system_sgpr_workgroup_id_x 1
		.amdhsa_system_sgpr_workgroup_id_y 0
		.amdhsa_system_sgpr_workgroup_id_z 0
		.amdhsa_system_sgpr_workgroup_info 0
		.amdhsa_system_vgpr_workitem_id 2
		.amdhsa_next_free_vgpr 40
		.amdhsa_next_free_sgpr 16
		.amdhsa_accum_offset 40
		.amdhsa_reserve_vcc 1
		.amdhsa_reserve_flat_scratch 0
		.amdhsa_float_round_mode_32 0
		.amdhsa_float_round_mode_16_64 0
		.amdhsa_float_denorm_mode_32 3
		.amdhsa_float_denorm_mode_16_64 3
		.amdhsa_dx10_clamp 1
		.amdhsa_ieee_mode 1
		.amdhsa_fp16_overflow 0
		.amdhsa_tg_split 0
		.amdhsa_exception_fp_ieee_invalid_op 0
		.amdhsa_exception_fp_denorm_src 0
		.amdhsa_exception_fp_ieee_div_zero 0
		.amdhsa_exception_fp_ieee_overflow 0
		.amdhsa_exception_fp_ieee_underflow 0
		.amdhsa_exception_fp_ieee_inexact 0
		.amdhsa_exception_int_div_zero 0
	.end_amdhsa_kernel
	.section	.text._ZN4RAJA34launch_new_reduce_global_fcn_fixedIZN8rajaperf4apps13DIFFUSION3DPA17runHipVariantImplILm64EEEvNS1_9VariantIDEEUlNS_14LaunchContextTINS_3hip33LaunchContextIndicesAndDimsPolicyINS7_14IndicesAndDimsILb0ELb0ELb0ELb0EEEEEEEE_Li64ENS_4expt15ForallParamPackIJEEEEEvT_T1_,"axG",@progbits,_ZN4RAJA34launch_new_reduce_global_fcn_fixedIZN8rajaperf4apps13DIFFUSION3DPA17runHipVariantImplILm64EEEvNS1_9VariantIDEEUlNS_14LaunchContextTINS_3hip33LaunchContextIndicesAndDimsPolicyINS7_14IndicesAndDimsILb0ELb0ELb0ELb0EEEEEEEE_Li64ENS_4expt15ForallParamPackIJEEEEEvT_T1_,comdat
.Lfunc_end1:
	.size	_ZN4RAJA34launch_new_reduce_global_fcn_fixedIZN8rajaperf4apps13DIFFUSION3DPA17runHipVariantImplILm64EEEvNS1_9VariantIDEEUlNS_14LaunchContextTINS_3hip33LaunchContextIndicesAndDimsPolicyINS7_14IndicesAndDimsILb0ELb0ELb0ELb0EEEEEEEE_Li64ENS_4expt15ForallParamPackIJEEEEEvT_T1_, .Lfunc_end1-_ZN4RAJA34launch_new_reduce_global_fcn_fixedIZN8rajaperf4apps13DIFFUSION3DPA17runHipVariantImplILm64EEEvNS1_9VariantIDEEUlNS_14LaunchContextTINS_3hip33LaunchContextIndicesAndDimsPolicyINS7_14IndicesAndDimsILb0ELb0ELb0ELb0EEEEEEEE_Li64ENS_4expt15ForallParamPackIJEEEEEvT_T1_
                                        ; -- End function
	.section	.AMDGPU.csdata,"",@progbits
; Kernel info:
; codeLenInByte = 2180
; NumSgprs: 20
; NumVgprs: 40
; NumAgprs: 0
; TotalNumVgprs: 40
; ScratchSize: 0
; MemoryBound: 0
; FloatMode: 240
; IeeeMode: 1
; LDSByteSize: 3168 bytes/workgroup (compile time only)
; SGPRBlocks: 2
; VGPRBlocks: 4
; NumSGPRsForWavesPerEU: 20
; NumVGPRsForWavesPerEU: 40
; AccumOffset: 40
; Occupancy: 5
; WaveLimiterHint : 1
; COMPUTE_PGM_RSRC2:SCRATCH_EN: 0
; COMPUTE_PGM_RSRC2:USER_SGPR: 6
; COMPUTE_PGM_RSRC2:TRAP_HANDLER: 0
; COMPUTE_PGM_RSRC2:TGID_X_EN: 1
; COMPUTE_PGM_RSRC2:TGID_Y_EN: 0
; COMPUTE_PGM_RSRC2:TGID_Z_EN: 0
; COMPUTE_PGM_RSRC2:TIDIG_COMP_CNT: 2
; COMPUTE_PGM_RSRC3_GFX90A:ACCUM_OFFSET: 9
; COMPUTE_PGM_RSRC3_GFX90A:TG_SPLIT: 0
	.text
	.p2alignl 6, 3212836864
	.fill 256, 4, 3212836864
	.type	__hip_cuid_f37c10ee49e6555b,@object ; @__hip_cuid_f37c10ee49e6555b
	.section	.bss,"aw",@nobits
	.globl	__hip_cuid_f37c10ee49e6555b
__hip_cuid_f37c10ee49e6555b:
	.byte	0                               ; 0x0
	.size	__hip_cuid_f37c10ee49e6555b, 1

	.ident	"AMD clang version 19.0.0git (https://github.com/RadeonOpenCompute/llvm-project roc-6.4.0 25133 c7fe45cf4b819c5991fe208aaa96edf142730f1d)"
	.section	".note.GNU-stack","",@progbits
	.addrsig
	.addrsig_sym __hip_cuid_f37c10ee49e6555b
	.amdgpu_metadata
---
amdhsa.kernels:
  - .agpr_count:     0
    .args:
      - .address_space:  global
        .offset:         0
        .size:           8
        .value_kind:     global_buffer
      - .address_space:  global
        .offset:         8
        .size:           8
        .value_kind:     global_buffer
      - .address_space:  global
        .offset:         16
        .size:           8
        .value_kind:     global_buffer
      - .address_space:  global
        .offset:         24
        .size:           8
        .value_kind:     global_buffer
      - .address_space:  global
        .offset:         32
        .size:           8
        .value_kind:     global_buffer
      - .offset:         40
        .size:           1
        .value_kind:     by_value
    .group_segment_fixed_size: 3168
    .kernarg_segment_align: 8
    .kernarg_segment_size: 44
    .language:       OpenCL C
    .language_version:
      - 2
      - 0
    .max_flat_workgroup_size: 64
    .name:           _ZN8rajaperf4apps13Diffusion3DPAILm64EEEvPdS2_S2_S2_S2_b
    .private_segment_fixed_size: 0
    .sgpr_count:     28
    .sgpr_spill_count: 0
    .symbol:         _ZN8rajaperf4apps13Diffusion3DPAILm64EEEvPdS2_S2_S2_S2_b.kd
    .uniform_work_group_size: 1
    .uses_dynamic_stack: false
    .vgpr_count:     48
    .vgpr_spill_count: 0
    .wavefront_size: 64
  - .agpr_count:     0
    .args:
      - .offset:         0
        .size:           48
        .value_kind:     by_value
      - .offset:         48
        .size:           1
        .value_kind:     by_value
    .group_segment_fixed_size: 3168
    .kernarg_segment_align: 8
    .kernarg_segment_size: 52
    .language:       OpenCL C
    .language_version:
      - 2
      - 0
    .max_flat_workgroup_size: 64
    .name:           _ZN4RAJA34launch_new_reduce_global_fcn_fixedIZN8rajaperf4apps13DIFFUSION3DPA17runHipVariantImplILm64EEEvNS1_9VariantIDEEUlNS_14LaunchContextTINS_3hip33LaunchContextIndicesAndDimsPolicyINS7_14IndicesAndDimsILb0ELb0ELb0ELb0EEEEEEEE_Li64ENS_4expt15ForallParamPackIJEEEEEvT_T1_
    .private_segment_fixed_size: 0
    .sgpr_count:     20
    .sgpr_spill_count: 0
    .symbol:         _ZN4RAJA34launch_new_reduce_global_fcn_fixedIZN8rajaperf4apps13DIFFUSION3DPA17runHipVariantImplILm64EEEvNS1_9VariantIDEEUlNS_14LaunchContextTINS_3hip33LaunchContextIndicesAndDimsPolicyINS7_14IndicesAndDimsILb0ELb0ELb0ELb0EEEEEEEE_Li64ENS_4expt15ForallParamPackIJEEEEEvT_T1_.kd
    .uniform_work_group_size: 1
    .uses_dynamic_stack: false
    .vgpr_count:     40
    .vgpr_spill_count: 0
    .wavefront_size: 64
amdhsa.target:   amdgcn-amd-amdhsa--gfx90a
amdhsa.version:
  - 1
  - 2
...

	.end_amdgpu_metadata
